;; amdgpu-corpus repo=ROCm/rocFFT kind=compiled arch=gfx906 opt=O3
	.text
	.amdgcn_target "amdgcn-amd-amdhsa--gfx906"
	.amdhsa_code_object_version 6
	.protected	fft_rtc_fwd_len1105_factors_17_13_5_wgs_255_tpt_85_halfLds_sp_op_CI_CI_unitstride_sbrr_dirReg ; -- Begin function fft_rtc_fwd_len1105_factors_17_13_5_wgs_255_tpt_85_halfLds_sp_op_CI_CI_unitstride_sbrr_dirReg
	.globl	fft_rtc_fwd_len1105_factors_17_13_5_wgs_255_tpt_85_halfLds_sp_op_CI_CI_unitstride_sbrr_dirReg
	.p2align	8
	.type	fft_rtc_fwd_len1105_factors_17_13_5_wgs_255_tpt_85_halfLds_sp_op_CI_CI_unitstride_sbrr_dirReg,@function
fft_rtc_fwd_len1105_factors_17_13_5_wgs_255_tpt_85_halfLds_sp_op_CI_CI_unitstride_sbrr_dirReg: ; @fft_rtc_fwd_len1105_factors_17_13_5_wgs_255_tpt_85_halfLds_sp_op_CI_CI_unitstride_sbrr_dirReg
; %bb.0:
	v_mul_u32_u24_e32 v1, 0x304, v0
	s_load_dwordx4 s[12:15], s[4:5], 0x58
	s_load_dwordx4 s[8:11], s[4:5], 0x0
	;; [unrolled: 1-line block ×3, first 2 shown]
	v_lshrrev_b32_e32 v1, 16, v1
	v_mad_u64_u32 v[9:10], s[0:1], s6, 3, v[1:2]
	v_mov_b32_e32 v3, 0
	s_waitcnt lgkmcnt(0)
	v_cmp_lt_u64_e64 s[0:1], s[10:11], 2
	v_mov_b32_e32 v43, 0
	v_mov_b32_e32 v10, v3
	;; [unrolled: 1-line block ×5, first 2 shown]
	s_and_b64 vcc, exec, s[0:1]
	v_mov_b32_e32 v2, v44
	v_mov_b32_e32 v8, v10
	s_cbranch_vccnz .LBB0_8
; %bb.1:
	s_load_dwordx2 s[0:1], s[4:5], 0x10
	s_add_u32 s2, s18, 8
	s_addc_u32 s3, s19, 0
	s_add_u32 s6, s16, 8
	s_addc_u32 s7, s17, 0
	v_mov_b32_e32 v43, 0
	s_waitcnt lgkmcnt(0)
	s_add_u32 s20, s0, 8
	v_mov_b32_e32 v44, 0
	v_mov_b32_e32 v1, v43
	;; [unrolled: 1-line block ×3, first 2 shown]
	s_addc_u32 s21, s1, 0
	s_mov_b64 s[22:23], 1
	v_mov_b32_e32 v2, v44
	v_mov_b32_e32 v6, v10
.LBB0_2:                                ; =>This Inner Loop Header: Depth=1
	s_load_dwordx2 s[24:25], s[20:21], 0x0
                                        ; implicit-def: $vgpr7_vgpr8
	s_waitcnt lgkmcnt(0)
	v_or_b32_e32 v4, s25, v6
	v_cmp_ne_u64_e32 vcc, 0, v[3:4]
	s_and_saveexec_b64 s[0:1], vcc
	s_xor_b64 s[26:27], exec, s[0:1]
	s_cbranch_execz .LBB0_4
; %bb.3:                                ;   in Loop: Header=BB0_2 Depth=1
	v_cvt_f32_u32_e32 v4, s24
	v_cvt_f32_u32_e32 v7, s25
	s_sub_u32 s0, 0, s24
	s_subb_u32 s1, 0, s25
	v_mac_f32_e32 v4, 0x4f800000, v7
	v_rcp_f32_e32 v4, v4
	v_mul_f32_e32 v4, 0x5f7ffffc, v4
	v_mul_f32_e32 v7, 0x2f800000, v4
	v_trunc_f32_e32 v7, v7
	v_mac_f32_e32 v4, 0xcf800000, v7
	v_cvt_u32_f32_e32 v7, v7
	v_cvt_u32_f32_e32 v4, v4
	v_mul_lo_u32 v8, s0, v7
	v_mul_hi_u32 v10, s0, v4
	v_mul_lo_u32 v12, s1, v4
	v_mul_lo_u32 v11, s0, v4
	v_add_u32_e32 v8, v10, v8
	v_add_u32_e32 v8, v8, v12
	v_mul_hi_u32 v10, v4, v11
	v_mul_lo_u32 v12, v4, v8
	v_mul_hi_u32 v14, v4, v8
	v_mul_hi_u32 v13, v7, v11
	v_mul_lo_u32 v11, v7, v11
	v_mul_hi_u32 v15, v7, v8
	v_add_co_u32_e32 v10, vcc, v10, v12
	v_addc_co_u32_e32 v12, vcc, 0, v14, vcc
	v_mul_lo_u32 v8, v7, v8
	v_add_co_u32_e32 v10, vcc, v10, v11
	v_addc_co_u32_e32 v10, vcc, v12, v13, vcc
	v_addc_co_u32_e32 v11, vcc, 0, v15, vcc
	v_add_co_u32_e32 v8, vcc, v10, v8
	v_addc_co_u32_e32 v10, vcc, 0, v11, vcc
	v_add_co_u32_e32 v4, vcc, v4, v8
	v_addc_co_u32_e32 v7, vcc, v7, v10, vcc
	v_mul_lo_u32 v8, s0, v7
	v_mul_hi_u32 v10, s0, v4
	v_mul_lo_u32 v11, s1, v4
	v_mul_lo_u32 v12, s0, v4
	v_add_u32_e32 v8, v10, v8
	v_add_u32_e32 v8, v8, v11
	v_mul_lo_u32 v13, v4, v8
	v_mul_hi_u32 v14, v4, v12
	v_mul_hi_u32 v15, v4, v8
	;; [unrolled: 1-line block ×3, first 2 shown]
	v_mul_lo_u32 v12, v7, v12
	v_mul_hi_u32 v10, v7, v8
	v_add_co_u32_e32 v13, vcc, v14, v13
	v_addc_co_u32_e32 v14, vcc, 0, v15, vcc
	v_mul_lo_u32 v8, v7, v8
	v_add_co_u32_e32 v12, vcc, v13, v12
	v_addc_co_u32_e32 v11, vcc, v14, v11, vcc
	v_addc_co_u32_e32 v10, vcc, 0, v10, vcc
	v_add_co_u32_e32 v8, vcc, v11, v8
	v_addc_co_u32_e32 v10, vcc, 0, v10, vcc
	v_add_co_u32_e32 v4, vcc, v4, v8
	v_addc_co_u32_e32 v10, vcc, v7, v10, vcc
	v_mad_u64_u32 v[7:8], s[0:1], v5, v10, 0
	v_mul_hi_u32 v11, v5, v4
	v_add_co_u32_e32 v12, vcc, v11, v7
	v_addc_co_u32_e32 v13, vcc, 0, v8, vcc
	v_mad_u64_u32 v[7:8], s[0:1], v6, v4, 0
	v_mad_u64_u32 v[10:11], s[0:1], v6, v10, 0
	v_add_co_u32_e32 v4, vcc, v12, v7
	v_addc_co_u32_e32 v4, vcc, v13, v8, vcc
	v_addc_co_u32_e32 v7, vcc, 0, v11, vcc
	v_add_co_u32_e32 v4, vcc, v4, v10
	v_addc_co_u32_e32 v10, vcc, 0, v7, vcc
	v_mul_lo_u32 v11, s25, v4
	v_mul_lo_u32 v12, s24, v10
	v_mad_u64_u32 v[7:8], s[0:1], s24, v4, 0
	v_add3_u32 v8, v8, v12, v11
	v_sub_u32_e32 v11, v6, v8
	v_mov_b32_e32 v12, s25
	v_sub_co_u32_e32 v7, vcc, v5, v7
	v_subb_co_u32_e64 v11, s[0:1], v11, v12, vcc
	v_subrev_co_u32_e64 v12, s[0:1], s24, v7
	v_subbrev_co_u32_e64 v11, s[0:1], 0, v11, s[0:1]
	v_cmp_le_u32_e64 s[0:1], s25, v11
	v_cndmask_b32_e64 v13, 0, -1, s[0:1]
	v_cmp_le_u32_e64 s[0:1], s24, v12
	v_cndmask_b32_e64 v12, 0, -1, s[0:1]
	v_cmp_eq_u32_e64 s[0:1], s25, v11
	v_cndmask_b32_e64 v11, v13, v12, s[0:1]
	v_add_co_u32_e64 v12, s[0:1], 2, v4
	v_addc_co_u32_e64 v13, s[0:1], 0, v10, s[0:1]
	v_add_co_u32_e64 v14, s[0:1], 1, v4
	v_addc_co_u32_e64 v15, s[0:1], 0, v10, s[0:1]
	v_subb_co_u32_e32 v8, vcc, v6, v8, vcc
	v_cmp_ne_u32_e64 s[0:1], 0, v11
	v_cmp_le_u32_e32 vcc, s25, v8
	v_cndmask_b32_e64 v11, v15, v13, s[0:1]
	v_cndmask_b32_e64 v13, 0, -1, vcc
	v_cmp_le_u32_e32 vcc, s24, v7
	v_cndmask_b32_e64 v7, 0, -1, vcc
	v_cmp_eq_u32_e32 vcc, s25, v8
	v_cndmask_b32_e32 v7, v13, v7, vcc
	v_cmp_ne_u32_e32 vcc, 0, v7
	v_cndmask_b32_e64 v7, v14, v12, s[0:1]
	v_cndmask_b32_e32 v8, v10, v11, vcc
	v_cndmask_b32_e32 v7, v4, v7, vcc
.LBB0_4:                                ;   in Loop: Header=BB0_2 Depth=1
	s_andn2_saveexec_b64 s[0:1], s[26:27]
	s_cbranch_execz .LBB0_6
; %bb.5:                                ;   in Loop: Header=BB0_2 Depth=1
	v_cvt_f32_u32_e32 v4, s24
	s_sub_i32 s26, 0, s24
	v_rcp_iflag_f32_e32 v4, v4
	v_mul_f32_e32 v4, 0x4f7ffffe, v4
	v_cvt_u32_f32_e32 v4, v4
	v_mul_lo_u32 v7, s26, v4
	v_mul_hi_u32 v7, v4, v7
	v_add_u32_e32 v4, v4, v7
	v_mul_hi_u32 v4, v5, v4
	v_mul_lo_u32 v7, v4, s24
	v_add_u32_e32 v8, 1, v4
	v_sub_u32_e32 v7, v5, v7
	v_subrev_u32_e32 v10, s24, v7
	v_cmp_le_u32_e32 vcc, s24, v7
	v_cndmask_b32_e32 v7, v7, v10, vcc
	v_cndmask_b32_e32 v4, v4, v8, vcc
	v_add_u32_e32 v8, 1, v4
	v_cmp_le_u32_e32 vcc, s24, v7
	v_cndmask_b32_e32 v7, v4, v8, vcc
	v_mov_b32_e32 v8, v3
.LBB0_6:                                ;   in Loop: Header=BB0_2 Depth=1
	s_or_b64 exec, exec, s[0:1]
	v_mul_lo_u32 v4, v8, s24
	v_mul_lo_u32 v12, v7, s25
	v_mad_u64_u32 v[10:11], s[0:1], v7, s24, 0
	s_load_dwordx2 s[0:1], s[6:7], 0x0
	s_load_dwordx2 s[24:25], s[2:3], 0x0
	v_add3_u32 v4, v11, v12, v4
	v_sub_co_u32_e32 v5, vcc, v5, v10
	v_subb_co_u32_e32 v4, vcc, v6, v4, vcc
	s_waitcnt lgkmcnt(0)
	v_mul_lo_u32 v6, s0, v4
	v_mul_lo_u32 v10, s1, v5
	v_mad_u64_u32 v[43:44], s[0:1], s0, v5, v[43:44]
	v_mul_lo_u32 v4, s24, v4
	v_mul_lo_u32 v11, s25, v5
	v_mad_u64_u32 v[1:2], s[0:1], s24, v5, v[1:2]
	s_add_u32 s22, s22, 1
	s_addc_u32 s23, s23, 0
	s_add_u32 s2, s2, 8
	v_add3_u32 v2, v11, v2, v4
	s_addc_u32 s3, s3, 0
	v_mov_b32_e32 v4, s10
	s_add_u32 s6, s6, 8
	v_mov_b32_e32 v5, s11
	s_addc_u32 s7, s7, 0
	v_cmp_ge_u64_e32 vcc, s[22:23], v[4:5]
	s_add_u32 s20, s20, 8
	v_add3_u32 v44, v10, v44, v6
	s_addc_u32 s21, s21, 0
	s_cbranch_vccnz .LBB0_8
; %bb.7:                                ;   in Loop: Header=BB0_2 Depth=1
	v_mov_b32_e32 v5, v7
	v_mov_b32_e32 v6, v8
	s_branch .LBB0_2
.LBB0_8:
	s_mov_b32 s2, 0x3030304
	s_load_dwordx2 s[0:1], s[4:5], 0x28
	v_mul_hi_u32 v3, v0, s2
	s_lshl_b64 s[10:11], s[10:11], 3
	s_movk_i32 s2, 0x41
	s_add_u32 s4, s18, s10
	v_mul_u32_u24_e32 v3, 0x55, v3
	s_waitcnt lgkmcnt(0)
	v_cmp_gt_u64_e64 s[0:1], s[0:1], v[7:8]
	v_sub_u32_e32 v3, v0, v3
	v_cmp_gt_u32_e64 s[2:3], s2, v3
	s_addc_u32 s5, s19, s11
	s_and_b64 s[18:19], s[0:1], s[2:3]
	v_mov_b32_e32 v5, 0
	v_mov_b32_e32 v4, 0
                                        ; implicit-def: $vgpr12
                                        ; implicit-def: $vgpr14
                                        ; implicit-def: $vgpr16
                                        ; implicit-def: $vgpr18
                                        ; implicit-def: $vgpr20
                                        ; implicit-def: $vgpr22
                                        ; implicit-def: $vgpr24
                                        ; implicit-def: $vgpr26
                                        ; implicit-def: $vgpr30
                                        ; implicit-def: $vgpr28
                                        ; implicit-def: $vgpr32
                                        ; implicit-def: $vgpr34
                                        ; implicit-def: $vgpr36
                                        ; implicit-def: $vgpr38
                                        ; implicit-def: $vgpr40
                                        ; implicit-def: $vgpr42
	s_and_saveexec_b64 s[6:7], s[18:19]
	s_cbranch_execz .LBB0_10
; %bb.9:
	s_add_u32 s10, s16, s10
	s_addc_u32 s11, s17, s11
	s_load_dwordx2 s[10:11], s[10:11], 0x0
	v_mov_b32_e32 v11, s13
	v_mov_b32_e32 v4, 0
	s_waitcnt lgkmcnt(0)
	v_mul_lo_u32 v0, s11, v7
	v_mul_lo_u32 v10, s10, v8
	v_mad_u64_u32 v[5:6], s[10:11], s10, v7, 0
	s_movk_i32 s10, 0x1000
	v_add3_u32 v6, v6, v10, v0
	v_lshlrev_b64 v[5:6], 3, v[5:6]
	v_add_co_u32_e32 v0, vcc, s12, v5
	v_addc_co_u32_e32 v10, vcc, v11, v6, vcc
	v_lshlrev_b64 v[5:6], 3, v[43:44]
	v_add_co_u32_e32 v0, vcc, v0, v5
	v_lshlrev_b64 v[4:5], 3, v[3:4]
	v_addc_co_u32_e32 v6, vcc, v10, v6, vcc
	v_add_co_u32_e32 v43, vcc, v0, v4
	v_addc_co_u32_e32 v44, vcc, v6, v5, vcc
	v_add_co_u32_e32 v45, vcc, s10, v43
	;; [unrolled: 2-line block ×3, first 2 shown]
	global_load_dwordx2 v[4:5], v[43:44], off
	global_load_dwordx2 v[11:12], v[43:44], off offset:520
	global_load_dwordx2 v[13:14], v[43:44], off offset:1040
	;; [unrolled: 1-line block ×3, first 2 shown]
	v_addc_co_u32_e32 v48, vcc, 0, v44, vcc
	global_load_dwordx2 v[17:18], v[43:44], off offset:2080
	global_load_dwordx2 v[19:20], v[43:44], off offset:2600
	;; [unrolled: 1-line block ×13, first 2 shown]
.LBB0_10:
	s_or_b64 exec, exec, s[6:7]
	s_mov_b32 s6, 0xaaaaaaab
	v_mul_hi_u32 v0, v9, s6
	s_waitcnt vmcnt(0)
	v_add_f32_e32 v10, v11, v29
	v_mul_f32_e32 v58, 0x3ee437d1, v10
	v_sub_f32_e32 v44, v12, v30
	v_lshrrev_b32_e32 v0, 1, v0
	v_lshl_add_u32 v0, v0, 1, v0
	v_sub_u32_e32 v0, v9, v0
	v_add_f32_e32 v9, v13, v27
	v_mov_b32_e32 v6, v58
	v_mul_f32_e32 v59, 0xbf1a4643, v9
	v_fmac_f32_e32 v6, 0xbf65296c, v44
	v_sub_f32_e32 v46, v14, v28
	v_mov_b32_e32 v43, v59
	v_add_f32_e32 v6, v4, v6
	v_mul_f32_e32 v63, 0x3dbcf732, v10
	v_fmac_f32_e32 v43, 0xbf4c4adb, v46
	v_add_f32_e32 v6, v6, v43
	v_mov_b32_e32 v43, v63
	v_mul_f32_e32 v65, 0xbf7ba420, v9
	v_fmac_f32_e32 v43, 0xbf7ee86f, v44
	v_mov_b32_e32 v45, v65
	v_add_f32_e32 v43, v4, v43
	v_fmac_f32_e32 v45, 0xbe3c28d5, v46
	v_add_f32_e32 v45, v43, v45
	v_add_f32_e32 v43, v15, v31
	v_mul_f32_e32 v60, 0xbf7ba420, v43
	v_sub_f32_e32 v49, v16, v32
	v_mov_b32_e32 v47, v60
	v_fmac_f32_e32 v47, 0x3e3c28d5, v49
	v_mul_f32_e32 v67, 0xbe8c1d8e, v43
	v_add_f32_e32 v6, v6, v47
	v_mov_b32_e32 v47, v67
	v_fmac_f32_e32 v47, 0x3f763a35, v49
	v_add_f32_e32 v47, v45, v47
	v_add_f32_e32 v45, v17, v33
	v_mul_f32_e32 v61, 0xbe8c1d8e, v45
	v_sub_f32_e32 v50, v18, v34
	v_mov_b32_e32 v48, v61
	v_fmac_f32_e32 v48, 0x3f763a35, v50
	v_mul_f32_e32 v69, 0x3f6eb680, v45
	v_add_f32_e32 v6, v6, v48
	v_mov_b32_e32 v48, v69
	;; [unrolled: 10-line block ×6, first 2 shown]
	v_mul_u32_u24_e32 v0, 0x451, v0
	v_fmac_f32_e32 v6, 0x3f2c7751, v57
	s_mov_b32 s16, 0x3ee437d1
	s_mov_b32 s13, 0x3dbcf732
	;; [unrolled: 1-line block ×8, first 2 shown]
	v_add_f32_e32 v6, v74, v6
	v_lshlrev_b32_e32 v0, 2, v0
	s_and_saveexec_b64 s[6:7], s[2:3]
	s_cbranch_execz .LBB0_12
; %bb.11:
	v_mul_f32_e32 v74, 0xbe3c28d5, v44
	v_mov_b32_e32 v75, v74
	v_mul_f32_e32 v76, 0x3eb8f4ab, v46
	v_fmac_f32_e32 v75, 0xbf7ba420, v10
	v_mov_b32_e32 v77, v76
	v_add_f32_e32 v75, v4, v75
	v_fmac_f32_e32 v77, 0x3f6eb680, v9
	v_add_f32_e32 v75, v75, v77
	v_mul_f32_e32 v77, 0xbf06c442, v49
	v_mov_b32_e32 v78, v77
	v_fmac_f32_e32 v78, 0xbf59a7d5, v43
	v_add_f32_e32 v75, v75, v78
	v_mul_f32_e32 v78, 0x3f2c7751, v50
	v_mov_b32_e32 v79, v78
	;; [unrolled: 4-line block ×3, first 2 shown]
	v_fmac_f32_e32 v80, 0xbf1a4643, v47
	v_add_f32_e32 v75, v75, v80
	v_mul_f32_e32 v80, 0x3f65296c, v54
	v_fma_f32 v74, v10, s19, -v74
	v_mov_b32_e32 v81, v80
	v_add_f32_e32 v74, v4, v74
	v_fma_f32 v76, v9, s17, -v76
	v_fmac_f32_e32 v81, 0x3ee437d1, v48
	v_add_f32_e32 v74, v74, v76
	v_fma_f32 v76, v43, s12, -v77
	v_add_f32_e32 v75, v75, v81
	v_mul_f32_e32 v81, 0xbf763a35, v56
	v_add_f32_e32 v74, v74, v76
	v_fma_f32 v76, v45, s10, -v78
	v_mov_b32_e32 v82, v81
	v_add_f32_e32 v74, v74, v76
	v_fma_f32 v76, v47, s11, -v79
	v_fmac_f32_e32 v82, 0xbe8c1d8e, v51
	v_add_f32_e32 v74, v74, v76
	v_fma_f32 v76, v48, s16, -v80
	v_add_f32_e32 v75, v75, v82
	v_mul_f32_e32 v82, 0x3f7ee86f, v57
	v_add_f32_e32 v74, v74, v76
	v_fma_f32 v76, v51, s18, -v81
	v_add_f32_e32 v74, v74, v76
	v_fma_f32 v76, v53, s13, -v82
	v_add_f32_e32 v74, v74, v76
	v_mul_f32_e32 v76, 0xbf06c442, v44
	v_mov_b32_e32 v77, v76
	v_mul_f32_e32 v78, 0x3f65296c, v46
	v_fmac_f32_e32 v77, 0xbf59a7d5, v10
	v_mov_b32_e32 v79, v78
	v_add_f32_e32 v77, v4, v77
	v_fmac_f32_e32 v79, 0x3ee437d1, v9
	v_add_f32_e32 v77, v77, v79
	v_mul_f32_e32 v79, 0xbf7ee86f, v49
	v_mov_b32_e32 v80, v79
	v_fmac_f32_e32 v80, 0x3dbcf732, v43
	v_add_f32_e32 v77, v77, v80
	v_mul_f32_e32 v80, 0x3f4c4adb, v50
	v_mov_b32_e32 v81, v80
	v_fmac_f32_e32 v81, 0xbf1a4643, v45
	v_add_f32_e32 v77, v77, v81
	v_mul_f32_e32 v81, 0xbeb8f4ab, v52
	v_mov_b32_e32 v83, v82
	v_mov_b32_e32 v82, v81
	v_fmac_f32_e32 v82, 0x3f6eb680, v47
	v_fmac_f32_e32 v83, 0x3dbcf732, v53
	v_add_f32_e32 v77, v77, v82
	v_mul_f32_e32 v82, 0xbe3c28d5, v54
	v_fma_f32 v76, v10, s12, -v76
	v_add_f32_e32 v75, v75, v83
	v_mov_b32_e32 v83, v82
	v_add_f32_e32 v76, v4, v76
	v_fma_f32 v78, v9, s16, -v78
	v_fmac_f32_e32 v83, 0xbf7ba420, v48
	v_add_f32_e32 v76, v76, v78
	v_fma_f32 v78, v43, s13, -v79
	v_add_f32_e32 v77, v77, v83
	v_mul_f32_e32 v83, 0x3f2c7751, v56
	v_add_f32_e32 v76, v76, v78
	v_fma_f32 v78, v45, s11, -v80
	v_mov_b32_e32 v84, v83
	v_add_f32_e32 v76, v76, v78
	v_fma_f32 v78, v47, s17, -v81
	v_fmac_f32_e32 v84, 0x3f3d2fb0, v51
	v_add_f32_e32 v76, v76, v78
	v_fma_f32 v78, v48, s19, -v82
	v_add_f32_e32 v77, v77, v84
	v_mul_f32_e32 v84, 0xbf763a35, v57
	v_add_f32_e32 v76, v76, v78
	v_fma_f32 v78, v51, s10, -v83
	v_add_f32_e32 v76, v76, v78
	v_fma_f32 v78, v53, s18, -v84
	v_add_f32_e32 v76, v76, v78
	v_mul_f32_e32 v78, 0xbf4c4adb, v44
	v_mov_b32_e32 v79, v78
	v_mul_f32_e32 v80, 0x3f763a35, v46
	v_fmac_f32_e32 v79, 0xbf1a4643, v10
	v_mov_b32_e32 v81, v80
	v_add_f32_e32 v79, v4, v79
	v_fmac_f32_e32 v81, 0xbe8c1d8e, v9
	v_add_f32_e32 v79, v79, v81
	v_mul_f32_e32 v81, 0xbeb8f4ab, v49
	v_mov_b32_e32 v82, v81
	v_fmac_f32_e32 v82, 0x3f6eb680, v43
	v_add_f32_e32 v79, v79, v82
	v_mul_f32_e32 v82, 0xbf06c442, v50
	v_mov_b32_e32 v83, v82
	v_fmac_f32_e32 v83, 0xbf59a7d5, v45
	v_add_f32_e32 v79, v79, v83
	v_mul_f32_e32 v83, 0x3f7ee86f, v52
	v_mov_b32_e32 v85, v84
	v_mov_b32_e32 v84, v83
	v_fmac_f32_e32 v84, 0x3dbcf732, v47
	v_fmac_f32_e32 v85, 0xbe8c1d8e, v53
	v_add_f32_e32 v79, v79, v84
	v_mul_f32_e32 v84, 0xbf2c7751, v54
	v_fma_f32 v78, v10, s11, -v78
	v_add_f32_e32 v77, v77, v85
	;; [unrolled: 48-line block ×3, first 2 shown]
	v_mov_b32_e32 v87, v86
	v_add_f32_e32 v80, v4, v80
	v_fma_f32 v82, v9, s12, -v82
	v_fmac_f32_e32 v87, 0x3dbcf732, v48
	v_add_f32_e32 v80, v80, v82
	v_fma_f32 v82, v43, s10, -v83
	v_add_f32_e32 v81, v81, v87
	v_mul_f32_e32 v87, 0xbeb8f4ab, v56
	v_add_f32_e32 v80, v80, v82
	v_fma_f32 v82, v45, s16, -v84
	v_mov_b32_e32 v88, v87
	v_add_f32_e32 v80, v80, v82
	v_fma_f32 v82, v47, s19, -v85
	v_fmac_f32_e32 v88, 0x3f6eb680, v51
	v_add_f32_e32 v80, v80, v82
	v_fma_f32 v82, v48, s13, -v86
	v_add_f32_e32 v81, v81, v88
	v_mul_f32_e32 v88, 0xbf4c4adb, v57
	v_add_f32_e32 v80, v80, v82
	v_fma_f32 v82, v51, s17, -v87
	v_add_f32_e32 v80, v80, v82
	v_fma_f32 v82, v53, s11, -v88
	v_add_f32_e32 v80, v80, v82
	v_mul_f32_e32 v82, 0xbf7ee86f, v44
	v_sub_f32_e32 v63, v63, v82
	v_mul_f32_e32 v82, 0xbe3c28d5, v46
	v_sub_f32_e32 v65, v65, v82
	v_add_f32_e32 v63, v4, v63
	v_add_f32_e32 v63, v63, v65
	v_mul_f32_e32 v65, 0x3f763a35, v49
	v_sub_f32_e32 v65, v67, v65
	v_add_f32_e32 v63, v63, v65
	v_mul_f32_e32 v65, 0x3eb8f4ab, v50
	v_sub_f32_e32 v65, v69, v65
	;; [unrolled: 3-line block ×7, first 2 shown]
	v_mul_f32_e32 v65, 0xbf4c4adb, v46
	v_sub_f32_e32 v59, v59, v65
	v_add_f32_e32 v58, v4, v58
	v_add_f32_e32 v58, v58, v59
	v_mul_f32_e32 v59, 0x3e3c28d5, v49
	v_sub_f32_e32 v59, v60, v59
	v_mul_f32_e32 v60, 0x3f763a35, v50
	v_add_f32_e32 v58, v58, v59
	v_mul_f32_e32 v59, 0x3f2c7751, v52
	v_sub_f32_e32 v60, v61, v60
	v_mul_f32_e32 v61, 0xbeb8f4ab, v54
	v_add_f32_e32 v58, v58, v60
	v_sub_f32_e32 v59, v62, v59
	v_mul_f32_e32 v60, 0xbf7ee86f, v56
	v_add_f32_e32 v58, v58, v59
	;; [unrolled: 3-line block ×3, first 2 shown]
	v_sub_f32_e32 v59, v66, v60
	v_add_f32_e32 v58, v58, v59
	v_sub_f32_e32 v59, v68, v62
	v_add_f32_e32 v58, v58, v59
	v_mul_f32_e32 v59, 0xbf2c7751, v44
	v_mov_b32_e32 v60, v59
	v_mul_f32_e32 v61, 0xbf7ee86f, v46
	v_fmac_f32_e32 v60, 0x3f3d2fb0, v10
	v_mov_b32_e32 v62, v61
	v_add_f32_e32 v60, v4, v60
	v_fmac_f32_e32 v62, 0x3dbcf732, v9
	v_add_f32_e32 v60, v60, v62
	v_mul_f32_e32 v62, 0xbf4c4adb, v49
	v_mov_b32_e32 v64, v62
	v_fmac_f32_e32 v64, 0xbf1a4643, v43
	v_add_f32_e32 v60, v60, v64
	v_mul_f32_e32 v64, 0xbe3c28d5, v50
	v_mov_b32_e32 v65, v64
	v_fmac_f32_e32 v65, 0xbf7ba420, v45
	v_add_f32_e32 v60, v60, v65
	v_mul_f32_e32 v65, 0x3f06c442, v52
	v_mov_b32_e32 v66, v65
	v_fmac_f32_e32 v66, 0xbf59a7d5, v47
	v_add_f32_e32 v60, v60, v66
	v_mul_f32_e32 v66, 0x3f763a35, v54
	v_fma_f32 v59, v10, s10, -v59
	v_mov_b32_e32 v67, v66
	v_add_f32_e32 v59, v4, v59
	v_fma_f32 v61, v9, s13, -v61
	v_fmac_f32_e32 v67, 0xbe8c1d8e, v48
	v_add_f32_e32 v59, v59, v61
	v_fma_f32 v61, v43, s11, -v62
	v_add_f32_e32 v60, v60, v67
	v_mul_f32_e32 v67, 0x3f65296c, v56
	v_add_f32_e32 v59, v59, v61
	v_fma_f32 v61, v45, s19, -v64
	v_mov_b32_e32 v68, v67
	v_add_f32_e32 v59, v59, v61
	v_fma_f32 v61, v47, s12, -v65
	v_fmac_f32_e32 v68, 0x3ee437d1, v51
	v_add_f32_e32 v59, v59, v61
	v_fma_f32 v61, v48, s18, -v66
	v_add_f32_e32 v60, v60, v68
	v_mul_f32_e32 v68, 0x3eb8f4ab, v57
	v_add_f32_e32 v59, v59, v61
	v_fma_f32 v61, v51, s16, -v67
	v_add_f32_e32 v59, v59, v61
	v_fma_f32 v61, v53, s17, -v68
	v_mul_f32_e32 v44, 0xbeb8f4ab, v44
	v_add_f32_e32 v59, v59, v61
	v_mov_b32_e32 v61, v44
	v_fmac_f32_e32 v61, 0x3f6eb680, v10
	v_fma_f32 v10, v10, s17, -v44
	v_add_f32_e32 v61, v4, v61
	v_add_f32_e32 v10, v4, v10
	v_add_f32_e32 v4, v4, v11
	v_mul_f32_e32 v46, 0xbf2c7751, v46
	v_add_f32_e32 v4, v4, v13
	v_mov_b32_e32 v62, v46
	v_add_f32_e32 v4, v4, v15
	v_fmac_f32_e32 v62, 0x3f3d2fb0, v9
	v_mul_f32_e32 v49, 0xbf65296c, v49
	v_add_f32_e32 v4, v4, v17
	v_add_f32_e32 v61, v61, v62
	v_mov_b32_e32 v62, v49
	v_add_f32_e32 v4, v4, v19
	v_fmac_f32_e32 v62, 0x3ee437d1, v43
	v_mul_f32_e32 v50, 0xbf7ee86f, v50
	v_add_f32_e32 v4, v4, v21
	v_add_f32_e32 v61, v61, v62
	v_mov_b32_e32 v62, v50
	v_add_f32_e32 v4, v4, v23
	v_fmac_f32_e32 v62, 0x3dbcf732, v45
	v_mul_f32_e32 v52, 0xbf763a35, v52
	v_fma_f32 v9, v9, s10, -v46
	v_add_f32_e32 v4, v4, v25
	v_add_f32_e32 v61, v61, v62
	v_mov_b32_e32 v62, v52
	v_add_f32_e32 v9, v10, v9
	v_fma_f32 v10, v43, s16, -v49
	v_add_f32_e32 v4, v4, v41
	v_fmac_f32_e32 v62, 0xbe8c1d8e, v47
	v_mul_f32_e32 v54, 0xbf4c4adb, v54
	v_add_f32_e32 v9, v9, v10
	v_fma_f32 v10, v45, s13, -v50
	v_add_f32_e32 v4, v39, v4
	v_add_f32_e32 v61, v61, v62
	v_mov_b32_e32 v62, v54
	v_add_f32_e32 v9, v9, v10
	v_fma_f32 v10, v47, s18, -v52
	v_add_f32_e32 v4, v37, v4
	v_fmac_f32_e32 v62, 0xbf1a4643, v48
	v_mul_f32_e32 v56, 0xbf06c442, v56
	v_add_f32_e32 v9, v9, v10
	v_fma_f32 v10, v48, s11, -v54
	v_add_f32_e32 v4, v35, v4
	v_add_f32_e32 v61, v61, v62
	v_mov_b32_e32 v62, v56
	v_mul_f32_e32 v57, 0xbe3c28d5, v57
	v_add_f32_e32 v9, v9, v10
	v_fma_f32 v10, v51, s12, -v56
	v_add_f32_e32 v4, v33, v4
	v_fmac_f32_e32 v62, 0xbf59a7d5, v51
	v_add_f32_e32 v9, v9, v10
	v_fma_f32 v10, v53, s19, -v57
	v_add_f32_e32 v4, v31, v4
	v_mov_b32_e32 v89, v88
	v_mov_b32_e32 v69, v68
	v_add_f32_e32 v61, v61, v62
	v_mov_b32_e32 v62, v57
	v_add_f32_e32 v9, v9, v10
	v_add_f32_e32 v4, v27, v4
	v_mul_u32_u24_e32 v10, 0x44, v3
	v_fmac_f32_e32 v89, 0xbf1a4643, v53
	v_fmac_f32_e32 v69, 0x3f6eb680, v53
	;; [unrolled: 1-line block ×3, first 2 shown]
	v_add_f32_e32 v4, v29, v4
	v_add3_u32 v10, 0, v10, v0
	v_add_f32_e32 v81, v81, v89
	v_add_f32_e32 v60, v60, v69
	;; [unrolled: 1-line block ×3, first 2 shown]
	ds_write2_b32 v10, v4, v9 offset1:1
	ds_write2_b32 v10, v59, v58 offset0:2 offset1:3
	ds_write2_b32 v10, v63, v80 offset0:4 offset1:5
	;; [unrolled: 1-line block ×7, first 2 shown]
	ds_write_b32 v10, v61 offset:64
.LBB0_12:
	s_or_b64 exec, exec, s[6:7]
	v_sub_f32_e32 v79, v11, v29
	v_add_f32_e32 v78, v12, v30
	v_mul_f32_e32 v80, 0xbf65296c, v79
	v_sub_f32_e32 v75, v13, v27
	v_fma_f32 v4, v78, s16, -v80
	v_mul_f32_e32 v81, 0xbf7ee86f, v79
	v_add_f32_e32 v74, v14, v28
	v_mul_f32_e32 v76, 0xbf4c4adb, v75
	v_add_f32_e32 v4, v5, v4
	v_fma_f32 v9, v78, s13, -v81
	v_fma_f32 v10, v74, s11, -v76
	v_mul_f32_e32 v77, 0xbe3c28d5, v75
	v_sub_f32_e32 v71, v15, v31
	v_add_f32_e32 v9, v5, v9
	v_add_f32_e32 v4, v4, v10
	v_fma_f32 v10, v74, s19, -v77
	v_add_f32_e32 v70, v16, v32
	v_mul_f32_e32 v72, 0x3e3c28d5, v71
	v_add_f32_e32 v9, v9, v10
	v_fma_f32 v10, v70, s19, -v72
	v_mul_f32_e32 v73, 0x3f763a35, v71
	v_sub_f32_e32 v67, v17, v33
	v_add_f32_e32 v4, v4, v10
	v_fma_f32 v10, v70, s18, -v73
	v_add_f32_e32 v66, v18, v34
	v_mul_f32_e32 v68, 0x3f763a35, v67
	v_add_f32_e32 v9, v9, v10
	v_fma_f32 v10, v66, s18, -v68
	v_mul_f32_e32 v69, 0x3eb8f4ab, v67
	v_sub_f32_e32 v63, v19, v35
	;; [unrolled: 8-line block ×5, first 2 shown]
	v_add_f32_e32 v4, v4, v10
	v_fma_f32 v10, v37, s11, -v57
	v_add_f32_e32 v23, v26, v42
	v_mul_f32_e32 v31, 0xbf06c442, v27
	v_lshlrev_b32_e32 v11, 2, v3
	v_add_f32_e32 v10, v9, v10
	v_fma_f32 v9, v23, s12, -v31
	v_add_u32_e32 v29, 0, v11
	v_add_f32_e32 v35, v4, v9
	v_add_u32_e32 v4, v29, v0
	v_add3_u32 v25, 0, v0, v11
	v_add_u32_e32 v17, 0x200, v4
	v_add_u32_e32 v9, 0x400, v4
	;; [unrolled: 1-line block ×5, first 2 shown]
	s_waitcnt lgkmcnt(0)
	s_barrier
	ds_read_b32 v13, v25
	ds_read2_b32 v[53:54], v4 offset0:85 offset1:170
	ds_read2_b32 v[51:52], v17 offset0:127 offset1:212
	;; [unrolled: 1-line block ×6, first 2 shown]
	v_mul_f32_e32 v33, 0x3f2c7751, v27
	v_fma_f32 v41, v23, s10, -v33
	v_add_f32_e32 v10, v10, v41
	s_waitcnt lgkmcnt(0)
	s_barrier
	s_and_saveexec_b64 s[6:7], s[2:3]
	s_cbranch_execz .LBB0_14
; %bb.13:
	v_add_f32_e32 v12, v5, v12
	v_add_f32_e32 v12, v12, v14
	;; [unrolled: 1-line block ×15, first 2 shown]
	v_mul_f32_e32 v38, 0xbe3c28d5, v79
	v_mul_f32_e32 v41, 0x3ee437d1, v78
	;; [unrolled: 1-line block ×3, first 2 shown]
	v_add_f32_e32 v12, v30, v12
	v_mul_f32_e32 v14, 0xbeb8f4ab, v79
	s_mov_b32 s3, 0x3f6eb680
	v_mul_f32_e32 v18, 0xbf2c7751, v79
	s_mov_b32 s12, 0x3f3d2fb0
	;; [unrolled: 2-line block ×5, first 2 shown]
	s_mov_b32 s13, 0xbf7ba420
	v_mov_b32_e32 v40, v38
	v_fma_f32 v16, v78, s3, -v14
	v_fmac_f32_e32 v14, 0x3f6eb680, v78
	v_fma_f32 v20, v78, s12, -v18
	v_fmac_f32_e32 v18, 0x3f3d2fb0, v78
	v_add_f32_e32 v22, v41, v80
	v_add_f32_e32 v24, v82, v81
	v_fma_f32 v28, v78, s2, -v26
	v_fmac_f32_e32 v26, 0xbe8c1d8e, v78
	v_fma_f32 v32, v78, s10, -v30
	v_fmac_f32_e32 v30, 0xbf1a4643, v78
	v_fma_f32 v36, v78, s17, -v34
	v_fmac_f32_e32 v34, 0xbf59a7d5, v78
	v_fmac_f32_e32 v40, 0xbf7ba420, v78
	v_fma_f32 v38, v78, s13, -v38
	v_add_f32_e32 v14, v5, v14
	v_add_f32_e32 v16, v5, v16
	v_add_f32_e32 v18, v5, v18
	v_add_f32_e32 v20, v5, v20
	v_add_f32_e32 v22, v5, v22
	v_add_f32_e32 v24, v5, v24
	v_add_f32_e32 v26, v5, v26
	v_add_f32_e32 v28, v5, v28
	v_add_f32_e32 v30, v5, v30
	v_add_f32_e32 v32, v5, v32
	v_add_f32_e32 v34, v5, v34
	v_add_f32_e32 v36, v5, v36
	v_add_f32_e32 v40, v5, v40
	v_add_f32_e32 v5, v5, v38
	v_mul_f32_e32 v38, 0xbf2c7751, v75
	v_fma_f32 v41, v74, s12, -v38
	v_fmac_f32_e32 v38, 0x3f3d2fb0, v74
	v_add_f32_e32 v14, v14, v38
	v_mul_f32_e32 v38, 0xbf7ee86f, v75
	s_mov_b32 s11, 0x3dbcf732
	v_mul_f32_e32 v83, 0xbf1a4643, v74
	v_add_f32_e32 v16, v16, v41
	v_fma_f32 v41, v74, s11, -v38
	v_fmac_f32_e32 v38, 0x3dbcf732, v74
	v_mul_f32_e32 v84, 0xbf7ba420, v74
	v_add_f32_e32 v18, v18, v38
	v_add_f32_e32 v38, v83, v76
	v_add_f32_e32 v22, v22, v38
	v_add_f32_e32 v38, v84, v77
	v_add_f32_e32 v24, v24, v38
	v_mul_f32_e32 v38, 0x3f06c442, v75
	v_add_f32_e32 v20, v20, v41
	v_fma_f32 v41, v74, s17, -v38
	v_fmac_f32_e32 v38, 0xbf59a7d5, v74
	v_add_f32_e32 v26, v26, v38
	v_mul_f32_e32 v38, 0x3f763a35, v75
	v_add_f32_e32 v28, v28, v41
	v_fma_f32 v41, v74, s2, -v38
	v_fmac_f32_e32 v38, 0xbe8c1d8e, v74
	v_add_f32_e32 v30, v30, v38
	v_mul_f32_e32 v38, 0x3f65296c, v75
	v_add_f32_e32 v32, v32, v41
	v_fma_f32 v41, v74, s16, -v38
	v_fmac_f32_e32 v38, 0x3ee437d1, v74
	v_add_f32_e32 v34, v34, v38
	v_mul_f32_e32 v38, 0x3eb8f4ab, v75
	v_add_f32_e32 v36, v36, v41
	v_mov_b32_e32 v41, v38
	v_fma_f32 v38, v74, s3, -v38
	v_fmac_f32_e32 v41, 0x3f6eb680, v74
	v_add_f32_e32 v5, v5, v38
	v_mul_f32_e32 v38, 0xbf65296c, v71
	v_add_f32_e32 v40, v40, v41
	v_fma_f32 v41, v70, s16, -v38
	v_fmac_f32_e32 v38, 0x3ee437d1, v70
	v_add_f32_e32 v14, v14, v38
	v_mul_f32_e32 v38, 0xbf4c4adb, v71
	v_mul_f32_e32 v85, 0xbf7ba420, v70
	v_add_f32_e32 v16, v16, v41
	v_fma_f32 v41, v70, s10, -v38
	v_fmac_f32_e32 v38, 0xbf1a4643, v70
	v_mul_f32_e32 v86, 0xbe8c1d8e, v70
	v_add_f32_e32 v18, v18, v38
	v_add_f32_e32 v38, v85, v72
	v_add_f32_e32 v22, v22, v38
	v_add_f32_e32 v38, v86, v73
	v_add_f32_e32 v24, v24, v38
	v_mul_f32_e32 v38, 0x3f2c7751, v71
	v_add_f32_e32 v20, v20, v41
	v_fma_f32 v41, v70, s12, -v38
	v_fmac_f32_e32 v38, 0x3f3d2fb0, v70
	v_add_f32_e32 v26, v26, v38
	v_mul_f32_e32 v38, 0xbeb8f4ab, v71
	v_add_f32_e32 v28, v28, v41
	v_fma_f32 v41, v70, s3, -v38
	v_fmac_f32_e32 v38, 0x3f6eb680, v70
	v_add_f32_e32 v30, v30, v38
	v_mul_f32_e32 v38, 0xbf7ee86f, v71
	v_add_f32_e32 v32, v32, v41
	v_fma_f32 v41, v70, s11, -v38
	v_fmac_f32_e32 v38, 0x3dbcf732, v70
	v_add_f32_e32 v34, v34, v38
	v_mul_f32_e32 v38, 0xbf06c442, v71
	v_add_f32_e32 v36, v36, v41
	v_mov_b32_e32 v41, v38
	v_fma_f32 v38, v70, s17, -v38
	v_fmac_f32_e32 v41, 0xbf59a7d5, v70
	v_add_f32_e32 v5, v5, v38
	v_mul_f32_e32 v38, 0xbf7ee86f, v67
	v_add_f32_e32 v40, v40, v41
	v_fma_f32 v41, v66, s11, -v38
	v_fmac_f32_e32 v38, 0x3dbcf732, v66
	v_add_f32_e32 v14, v14, v38
	v_mul_f32_e32 v38, 0xbe3c28d5, v67
	;; [unrolled: 37-line block ×5, first 2 shown]
	v_mul_f32_e32 v93, 0x3dbcf732, v37
	v_add_f32_e32 v16, v16, v41
	v_fma_f32 v41, v37, s16, -v38
	v_fmac_f32_e32 v38, 0x3ee437d1, v37
	v_mul_f32_e32 v94, 0xbf1a4643, v37
	v_add_f32_e32 v18, v18, v38
	v_add_f32_e32 v38, v93, v56
	;; [unrolled: 1-line block ×5, first 2 shown]
	v_mul_f32_e32 v38, 0xbeb8f4ab, v39
	v_add_f32_e32 v20, v20, v41
	v_fma_f32 v41, v37, s3, -v38
	v_fmac_f32_e32 v38, 0x3f6eb680, v37
	v_add_f32_e32 v26, v26, v38
	v_mul_f32_e32 v38, 0xbe3c28d5, v39
	v_mul_f32_e32 v95, 0xbf59a7d5, v23
	v_add_f32_e32 v28, v28, v41
	v_fma_f32 v41, v37, s13, -v38
	v_fmac_f32_e32 v38, 0xbf7ba420, v37
	v_mul_f32_e32 v96, 0x3f3d2fb0, v23
	v_add_f32_e32 v30, v30, v38
	v_mul_f32_e32 v38, 0x3f2c7751, v39
	v_add_f32_e32 v31, v95, v31
	v_add_f32_e32 v32, v32, v41
	v_fma_f32 v41, v37, s12, -v38
	v_fmac_f32_e32 v38, 0x3f3d2fb0, v37
	v_add_f32_e32 v22, v22, v31
	v_add_f32_e32 v31, v96, v33
	;; [unrolled: 1-line block ×3, first 2 shown]
	v_mul_f32_e32 v38, 0xbf763a35, v39
	v_add_f32_e32 v24, v24, v31
	v_mul_f32_e32 v31, 0xbf4c4adb, v27
	v_mov_b32_e32 v39, v38
	v_fma_f32 v33, v23, s10, -v31
	v_fmac_f32_e32 v31, 0xbf1a4643, v23
	v_fmac_f32_e32 v39, 0xbe8c1d8e, v37
	v_fma_f32 v37, v37, s2, -v38
	v_add_f32_e32 v26, v26, v31
	v_mul_f32_e32 v31, 0x3f65296c, v27
	v_add_f32_e32 v5, v5, v37
	v_mul_f32_e32 v37, 0xbe3c28d5, v27
	v_add_f32_e32 v28, v28, v33
	v_fma_f32 v33, v23, s16, -v31
	v_fmac_f32_e32 v31, 0x3ee437d1, v23
	v_fma_f32 v38, v23, s13, -v37
	v_fmac_f32_e32 v37, 0xbf7ba420, v23
	v_add_f32_e32 v30, v30, v31
	v_add_f32_e32 v31, v32, v33
	v_mul_f32_e32 v32, 0xbf763a35, v27
	v_add_f32_e32 v14, v14, v37
	v_mul_f32_e32 v37, 0x3eb8f4ab, v27
	v_fma_f32 v33, v23, s2, -v32
	v_fmac_f32_e32 v32, 0xbe8c1d8e, v23
	v_mul_f32_e32 v27, 0x3f7ee86f, v27
	v_add_f32_e32 v32, v34, v32
	v_mov_b32_e32 v34, v27
	v_add_f32_e32 v16, v16, v38
	v_fma_f32 v38, v23, s3, -v37
	v_fmac_f32_e32 v37, 0x3f6eb680, v23
	v_fmac_f32_e32 v34, 0x3dbcf732, v23
	v_fma_f32 v23, v23, s11, -v27
	v_add_f32_e32 v5, v5, v23
	v_lshlrev_b32_e32 v23, 6, v3
	v_add_f32_e32 v36, v36, v41
	v_add_f32_e32 v39, v40, v39
	v_add3_u32 v23, v29, v23, v0
	v_add_f32_e32 v18, v18, v37
	v_add_f32_e32 v20, v20, v38
	;; [unrolled: 1-line block ×4, first 2 shown]
	ds_write2_b32 v23, v12, v14 offset1:1
	ds_write2_b32 v23, v18, v22 offset0:2 offset1:3
	ds_write2_b32 v23, v24, v26 offset0:4 offset1:5
	ds_write2_b32 v23, v30, v32 offset0:6 offset1:7
	ds_write2_b32 v23, v34, v5 offset0:8 offset1:9
	ds_write2_b32 v23, v33, v31 offset0:10 offset1:11
	ds_write2_b32 v23, v28, v10 offset0:12 offset1:13
	ds_write2_b32 v23, v35, v20 offset0:14 offset1:15
	ds_write_b32 v23, v16 offset:64
.LBB0_14:
	s_or_b64 exec, exec, s[6:7]
	s_movk_i32 s2, 0xf1
	v_mul_lo_u16_sdwa v5, v3, s2 dst_sel:DWORD dst_unused:UNUSED_PAD src0_sel:BYTE_0 src1_sel:DWORD
	v_lshrrev_b16_e32 v24, 12, v5
	v_mul_lo_u16_e32 v5, 17, v24
	v_sub_u16_e32 v84, v3, v5
	v_mov_b32_e32 v5, 12
	v_mul_u32_u24_sdwa v5, v84, v5 dst_sel:DWORD dst_unused:UNUSED_PAD src0_sel:BYTE_0 src1_sel:DWORD
	v_lshlrev_b32_e32 v5, 3, v5
	s_load_dwordx2 s[4:5], s[4:5], 0x0
	s_waitcnt lgkmcnt(0)
	s_barrier
	global_load_dwordx4 v[36:39], v5, s[8:9]
	global_load_dwordx4 v[60:63], v5, s[8:9] offset:16
	global_load_dwordx4 v[64:67], v5, s[8:9] offset:32
	;; [unrolled: 1-line block ×5, first 2 shown]
	ds_read_b32 v34, v25
	ds_read2_b32 v[22:23], v4 offset0:85 offset1:170
	ds_read2_b32 v[17:18], v17 offset0:127 offset1:212
	;; [unrolled: 1-line block ×6, first 2 shown]
	s_mov_b32 s12, 0x3f62ad3f
	s_mov_b32 s11, 0x3f116cb1
	;; [unrolled: 1-line block ×6, first 2 shown]
	s_movk_i32 s2, 0x374
	v_mad_u32_u24 v24, v24, s2, 0
	s_waitcnt vmcnt(0) lgkmcnt(0)
	s_barrier
	v_cmp_gt_u32_e64 s[2:3], 51, v3
	v_mul_f32_e32 v5, v22, v37
	v_mul_f32_e32 v14, v23, v39
	v_fma_f32 v58, v53, v36, -v5
	v_mul_f32_e32 v57, v53, v37
	v_mul_f32_e32 v30, v17, v61
	v_fma_f32 v53, v54, v38, -v14
	v_add_f32_e32 v5, v13, v58
	v_mul_f32_e32 v31, v18, v63
	v_fma_f32 v41, v51, v60, -v30
	v_add_f32_e32 v5, v5, v53
	v_mul_f32_e32 v42, v54, v39
	v_mul_f32_e32 v39, v51, v61
	v_mul_f32_e32 v61, v26, v65
	v_fma_f32 v37, v52, v62, -v31
	v_add_f32_e32 v5, v5, v41
	v_mul_f32_e32 v32, v52, v63
	v_mul_f32_e32 v28, v49, v65
	;; [unrolled: 5-line block ×3, first 2 shown]
	v_fmac_f32_e32 v28, v26, v64
	v_fma_f32 v26, v50, v66, -v63
	v_add_f32_e32 v5, v5, v30
	v_mul_f32_e32 v67, v81, v71
	v_fmac_f32_e32 v12, v27, v66
	v_fma_f32 v27, v47, v68, -v65
	v_add_f32_e32 v5, v5, v26
	v_mul_f32_e32 v16, v47, v69
	v_mul_f32_e32 v69, v82, v73
	v_fma_f32 v31, v48, v70, -v67
	v_add_f32_e32 v5, v5, v27
	v_mul_f32_e32 v29, v48, v71
	v_mul_f32_e32 v71, v83, v75
	;; [unrolled: 1-line block ×3, first 2 shown]
	v_fmac_f32_e32 v42, v23, v38
	v_fma_f32 v38, v45, v72, -v69
	v_add_f32_e32 v5, v5, v31
	v_mul_f32_e32 v33, v45, v73
	v_mul_f32_e32 v40, v46, v75
	;; [unrolled: 1-line block ×4, first 2 shown]
	v_fmac_f32_e32 v57, v22, v36
	v_fma_f32 v45, v46, v74, -v71
	v_fmac_f32_e32 v59, v21, v78
	v_add_f32_e32 v5, v5, v38
	v_mul_f32_e32 v56, v43, v77
	v_fmac_f32_e32 v39, v17, v60
	v_fma_f32 v43, v43, v76, -v73
	v_fma_f32 v44, v44, v78, -v75
	v_sub_f32_e32 v17, v57, v59
	v_add_f32_e32 v5, v5, v45
	v_fmac_f32_e32 v32, v18, v62
	v_fmac_f32_e32 v56, v20, v76
	v_add_f32_e32 v14, v58, v44
	v_mul_f32_e32 v18, 0xbeedf032, v17
	v_mul_f32_e32 v20, 0xbf52af12, v17
	;; [unrolled: 1-line block ×3, first 2 shown]
	v_add_f32_e32 v5, v5, v43
	v_mul_f32_e32 v46, 0xbf6f5d39, v17
	v_mul_f32_e32 v48, 0xbf29c268, v17
	;; [unrolled: 1-line block ×3, first 2 shown]
	v_fma_f32 v22, v14, s12, -v18
	v_fmac_f32_e32 v18, 0x3f62ad3f, v14
	v_fma_f32 v23, v14, s11, -v20
	v_fmac_f32_e32 v20, 0x3f116cb1, v14
	v_add_f32_e32 v36, v5, v44
	v_fma_f32 v5, v14, s10, -v21
	v_fmac_f32_e32 v21, 0x3df6dbef, v14
	v_fma_f32 v47, v14, s13, -v46
	v_fmac_f32_e32 v46, 0xbeb58ec6, v14
	;; [unrolled: 2-line block ×4, first 2 shown]
	v_add_f32_e32 v22, v13, v22
	v_add_f32_e32 v18, v13, v18
	;; [unrolled: 1-line block ×12, first 2 shown]
	v_sub_f32_e32 v17, v42, v56
	v_add_f32_e32 v14, v53, v43
	v_mul_f32_e32 v51, 0xbf52af12, v17
	v_fma_f32 v52, v14, s11, -v51
	v_fmac_f32_e32 v51, 0x3f116cb1, v14
	v_add_f32_e32 v18, v51, v18
	v_mul_f32_e32 v51, 0xbf6f5d39, v17
	v_add_f32_e32 v22, v52, v22
	v_fma_f32 v52, v14, s13, -v51
	v_fmac_f32_e32 v51, 0xbeb58ec6, v14
	v_add_f32_e32 v20, v51, v20
	v_mul_f32_e32 v51, 0xbe750f2a, v17
	v_add_f32_e32 v23, v52, v23
	v_fma_f32 v52, v14, s17, -v51
	v_fmac_f32_e32 v51, 0xbf788fa5, v14
	v_add_f32_e32 v21, v51, v21
	v_mul_f32_e32 v51, 0x3f29c268, v17
	v_add_f32_e32 v5, v52, v5
	v_fma_f32 v52, v14, s16, -v51
	v_fmac_f32_e32 v51, 0xbf3f9e67, v14
	v_add_f32_e32 v46, v51, v46
	v_mul_f32_e32 v51, 0x3f7e222b, v17
	v_add_f32_e32 v47, v52, v47
	v_fma_f32 v52, v14, s10, -v51
	v_fmac_f32_e32 v51, 0x3df6dbef, v14
	v_mul_f32_e32 v17, 0x3eedf032, v17
	v_fmac_f32_e32 v40, v83, v74
	v_add_f32_e32 v48, v51, v48
	v_fma_f32 v51, v14, s12, -v17
	v_fmac_f32_e32 v17, 0x3f62ad3f, v14
	v_add_f32_e32 v13, v17, v13
	v_sub_f32_e32 v17, v39, v40
	v_add_f32_e32 v50, v51, v50
	v_add_f32_e32 v14, v41, v45
	v_mul_f32_e32 v51, 0xbf7e222b, v17
	v_add_f32_e32 v49, v52, v49
	v_fma_f32 v52, v14, s10, -v51
	v_fmac_f32_e32 v51, 0x3df6dbef, v14
	v_add_f32_e32 v18, v51, v18
	v_mul_f32_e32 v51, 0xbe750f2a, v17
	v_add_f32_e32 v22, v52, v22
	v_fma_f32 v52, v14, s17, -v51
	v_fmac_f32_e32 v51, 0xbf788fa5, v14
	v_add_f32_e32 v20, v51, v20
	v_mul_f32_e32 v51, 0x3f6f5d39, v17
	v_add_f32_e32 v23, v52, v23
	v_fma_f32 v52, v14, s13, -v51
	v_fmac_f32_e32 v51, 0xbeb58ec6, v14
	v_add_f32_e32 v21, v51, v21
	v_mul_f32_e32 v51, 0x3eedf032, v17
	v_add_f32_e32 v5, v52, v5
	v_fma_f32 v52, v14, s12, -v51
	v_fmac_f32_e32 v51, 0x3f62ad3f, v14
	v_add_f32_e32 v46, v51, v46
	v_mul_f32_e32 v51, 0xbf52af12, v17
	v_add_f32_e32 v47, v52, v47
	v_fma_f32 v52, v14, s11, -v51
	v_fmac_f32_e32 v51, 0x3f116cb1, v14
	v_mul_f32_e32 v17, 0xbf29c268, v17
	v_fmac_f32_e32 v33, v82, v72
	v_add_f32_e32 v48, v51, v48
	v_fma_f32 v51, v14, s16, -v17
	v_fmac_f32_e32 v17, 0xbf3f9e67, v14
	v_add_f32_e32 v13, v17, v13
	v_sub_f32_e32 v17, v32, v33
	v_add_f32_e32 v50, v51, v50
	v_add_f32_e32 v14, v37, v38
	v_mul_f32_e32 v51, 0xbf6f5d39, v17
	v_add_f32_e32 v49, v52, v49
	;; [unrolled: 33-line block ×3, first 2 shown]
	v_fma_f32 v52, v14, s16, -v51
	v_fmac_f32_e32 v51, 0xbf3f9e67, v14
	v_add_f32_e32 v18, v51, v18
	v_mul_f32_e32 v51, 0x3f7e222b, v17
	v_add_f32_e32 v22, v52, v22
	v_fma_f32 v52, v14, s10, -v51
	v_fmac_f32_e32 v51, 0x3df6dbef, v14
	v_add_f32_e32 v20, v51, v20
	v_mul_f32_e32 v51, 0xbf52af12, v17
	v_add_f32_e32 v23, v52, v23
	v_fma_f32 v52, v14, s11, -v51
	v_add_f32_e32 v52, v52, v5
	v_fmac_f32_e32 v51, 0x3f116cb1, v14
	v_mul_f32_e32 v5, 0x3e750f2a, v17
	v_add_f32_e32 v21, v51, v21
	v_fma_f32 v51, v14, s17, -v5
	v_fmac_f32_e32 v5, 0xbf788fa5, v14
	v_add_f32_e32 v46, v5, v46
	v_mul_f32_e32 v5, 0x3eedf032, v17
	v_add_f32_e32 v47, v51, v47
	v_fma_f32 v51, v14, s12, -v5
	v_fmac_f32_e32 v5, 0x3f62ad3f, v14
	v_fmac_f32_e32 v16, v80, v68
	v_add_f32_e32 v48, v5, v48
	v_mul_f32_e32 v5, 0xbf6f5d39, v17
	v_fma_f32 v17, v14, s13, -v5
	v_fmac_f32_e32 v5, 0xbeb58ec6, v14
	v_sub_f32_e32 v54, v12, v16
	v_add_f32_e32 v49, v51, v49
	v_add_f32_e32 v17, v17, v50
	;; [unrolled: 1-line block ×4, first 2 shown]
	v_mul_f32_e32 v5, 0xbe750f2a, v54
	v_fma_f32 v13, v51, s17, -v5
	v_add_f32_e32 v22, v13, v22
	v_mul_f32_e32 v13, 0x3eedf032, v54
	v_fmac_f32_e32 v5, 0xbf788fa5, v51
	v_fma_f32 v14, v51, s12, -v13
	v_fmac_f32_e32 v13, 0x3f62ad3f, v51
	v_add_f32_e32 v5, v5, v18
	v_add_f32_e32 v18, v14, v23
	;; [unrolled: 1-line block ×3, first 2 shown]
	v_mul_f32_e32 v13, 0xbf29c268, v54
	v_fma_f32 v20, v51, s16, -v13
	v_fmac_f32_e32 v13, 0xbf3f9e67, v51
	v_add_f32_e32 v13, v13, v21
	v_mul_f32_e32 v21, 0x3f52af12, v54
	v_fma_f32 v23, v51, s11, -v21
	v_fmac_f32_e32 v21, 0x3f116cb1, v51
	v_add_f32_e32 v21, v21, v46
	v_mul_f32_e32 v46, 0xbf6f5d39, v54
	v_add_f32_e32 v23, v23, v47
	v_fma_f32 v47, v51, s13, -v46
	v_fmac_f32_e32 v46, 0xbeb58ec6, v51
	v_add_f32_e32 v48, v46, v48
	v_mul_f32_e32 v46, 0x3f7e222b, v54
	v_add_f32_e32 v47, v47, v49
	v_fma_f32 v49, v51, s10, -v46
	v_fmac_f32_e32 v46, 0x3df6dbef, v51
	v_add_f32_e32 v17, v49, v17
	v_add_f32_e32 v49, v46, v50
	v_mov_b32_e32 v46, 2
	v_lshlrev_b32_sdwa v46, v46, v84 dst_sel:DWORD dst_unused:UNUSED_PAD src0_sel:DWORD src1_sel:BYTE_0
	v_add_f32_e32 v20, v20, v52
	v_add3_u32 v46, v24, v46, v0
	ds_write2_b32 v46, v36, v22 offset1:17
	ds_write2_b32 v46, v18, v20 offset0:34 offset1:51
	ds_write2_b32 v46, v23, v47 offset0:68 offset1:85
	;; [unrolled: 1-line block ×5, first 2 shown]
	ds_write_b32 v46, v5 offset:816
	s_waitcnt lgkmcnt(0)
	s_barrier
	ds_read2_b32 v[17:18], v4 offset0:85 offset1:221
	ds_read2_b32 v[23:24], v9 offset0:50 offset1:186
	;; [unrolled: 1-line block ×4, first 2 shown]
	ds_read_b32 v0, v25
	ds_read_b32 v36, v4 offset:3876
	s_and_saveexec_b64 s[6:7], s[2:3]
	s_cbranch_execz .LBB0_16
; %bb.15:
	v_add_u32_e32 v5, 0x280, v4
	ds_read2_b32 v[13:14], v5 offset0:10 offset1:231
	v_add_u32_e32 v5, 0x980, v4
	ds_read2_b32 v[5:6], v5 offset0:4 offset1:225
	ds_read_b32 v55, v4 offset:4216
.LBB0_16:
	s_or_b64 exec, exec, s[6:7]
	v_add_f32_e32 v9, v34, v57
	v_add_f32_e32 v9, v9, v42
	;; [unrolled: 1-line block ×10, first 2 shown]
	v_sub_f32_e32 v15, v58, v44
	v_add_f32_e32 v9, v9, v56
	v_mul_f32_e32 v44, 0xbeedf032, v15
	v_mul_f32_e32 v49, 0xbf52af12, v15
	;; [unrolled: 1-line block ×6, first 2 shown]
	v_add_f32_e32 v47, v9, v59
	v_add_f32_e32 v9, v57, v59
	v_mov_b32_e32 v48, v44
	v_mov_b32_e32 v50, v49
	;; [unrolled: 1-line block ×6, first 2 shown]
	v_fmac_f32_e32 v48, 0x3f62ad3f, v9
	v_fma_f32 v44, v9, s12, -v44
	v_fmac_f32_e32 v50, 0x3f116cb1, v9
	v_fma_f32 v49, v9, s11, -v49
	;; [unrolled: 2-line block ×6, first 2 shown]
	v_add_f32_e32 v48, v34, v48
	v_add_f32_e32 v44, v34, v44
	;; [unrolled: 1-line block ×12, first 2 shown]
	v_sub_f32_e32 v34, v53, v43
	v_add_f32_e32 v15, v42, v56
	v_mul_f32_e32 v42, 0xbf52af12, v34
	v_mov_b32_e32 v43, v42
	v_fma_f32 v42, v15, s11, -v42
	v_fmac_f32_e32 v43, 0x3f116cb1, v15
	v_add_f32_e32 v42, v42, v44
	v_mul_f32_e32 v44, 0xbf6f5d39, v34
	v_add_f32_e32 v43, v43, v48
	v_mov_b32_e32 v48, v44
	v_fma_f32 v44, v15, s13, -v44
	v_fmac_f32_e32 v48, 0xbeb58ec6, v15
	v_add_f32_e32 v44, v44, v49
	v_mul_f32_e32 v49, 0xbe750f2a, v34
	v_add_f32_e32 v48, v48, v50
	;; [unrolled: 6-line block ×3, first 2 shown]
	v_mov_b32_e32 v52, v51
	v_fma_f32 v51, v15, s16, -v51
	v_mul_f32_e32 v53, 0x3f7e222b, v34
	v_mul_f32_e32 v34, 0x3eedf032, v34
	v_add_f32_e32 v51, v51, v54
	v_mov_b32_e32 v54, v53
	v_mov_b32_e32 v56, v34
	v_fmac_f32_e32 v52, 0xbf3f9e67, v15
	v_fmac_f32_e32 v54, 0x3df6dbef, v15
	v_fma_f32 v53, v15, s10, -v53
	v_fmac_f32_e32 v56, 0x3f62ad3f, v15
	v_fma_f32 v15, v15, s12, -v34
	v_sub_f32_e32 v34, v41, v45
	v_add_f32_e32 v9, v15, v9
	v_add_f32_e32 v15, v39, v40
	v_mul_f32_e32 v39, 0xbf7e222b, v34
	v_mov_b32_e32 v40, v39
	v_fmac_f32_e32 v40, 0x3df6dbef, v15
	v_fma_f32 v39, v15, s10, -v39
	v_mul_f32_e32 v41, 0xbe750f2a, v34
	v_add_f32_e32 v40, v40, v43
	v_add_f32_e32 v39, v39, v42
	v_mov_b32_e32 v42, v41
	v_fma_f32 v41, v15, s17, -v41
	v_mul_f32_e32 v43, 0x3f6f5d39, v34
	v_fmac_f32_e32 v42, 0xbf788fa5, v15
	v_add_f32_e32 v41, v41, v44
	v_mov_b32_e32 v44, v43
	v_fma_f32 v43, v15, s13, -v43
	v_mul_f32_e32 v45, 0x3eedf032, v34
	v_add_f32_e32 v42, v42, v48
	v_fmac_f32_e32 v44, 0xbeb58ec6, v15
	v_add_f32_e32 v43, v43, v49
	v_mov_b32_e32 v48, v45
	v_fma_f32 v45, v15, s12, -v45
	v_mul_f32_e32 v49, 0xbf52af12, v34
	v_mul_f32_e32 v34, 0xbf29c268, v34
	v_add_f32_e32 v44, v44, v50
	v_add_f32_e32 v45, v45, v51
	v_mov_b32_e32 v50, v49
	v_mov_b32_e32 v51, v34
	v_fmac_f32_e32 v48, 0x3f62ad3f, v15
	v_fmac_f32_e32 v50, 0x3f116cb1, v15
	v_fma_f32 v49, v15, s11, -v49
	v_fmac_f32_e32 v51, 0xbf3f9e67, v15
	v_fma_f32 v15, v15, s16, -v34
	v_add_f32_e32 v9, v15, v9
	v_add_f32_e32 v15, v32, v33
	v_sub_f32_e32 v32, v37, v38
	v_mul_f32_e32 v33, 0xbf6f5d39, v32
	v_mov_b32_e32 v34, v33
	v_fma_f32 v33, v15, s13, -v33
	v_mul_f32_e32 v37, 0x3f29c268, v32
	v_fmac_f32_e32 v34, 0xbeb58ec6, v15
	v_add_f32_e32 v33, v33, v39
	v_mov_b32_e32 v38, v37
	v_fma_f32 v37, v15, s16, -v37
	v_mul_f32_e32 v39, 0x3eedf032, v32
	v_add_f32_e32 v34, v34, v40
	v_fmac_f32_e32 v38, 0xbf3f9e67, v15
	v_add_f32_e32 v37, v37, v41
	v_mov_b32_e32 v40, v39
	v_fma_f32 v39, v15, s12, -v39
	v_mul_f32_e32 v41, 0xbf7e222b, v32
	v_add_f32_e32 v38, v38, v42
	v_fmac_f32_e32 v40, 0x3f62ad3f, v15
	v_add_f32_e32 v39, v39, v43
	v_mov_b32_e32 v42, v41
	v_fma_f32 v41, v15, s10, -v41
	v_mul_f32_e32 v43, 0x3e750f2a, v32
	v_mul_f32_e32 v32, 0x3f52af12, v32
	v_add_f32_e32 v40, v40, v44
	v_add_f32_e32 v41, v41, v45
	v_mov_b32_e32 v44, v43
	v_mov_b32_e32 v45, v32
	v_fmac_f32_e32 v42, 0x3df6dbef, v15
	v_fmac_f32_e32 v44, 0xbf788fa5, v15
	v_fma_f32 v43, v15, s17, -v43
	v_fmac_f32_e32 v45, 0x3f116cb1, v15
	v_fma_f32 v15, v15, s11, -v32
	v_add_f32_e32 v9, v15, v9
	v_add_f32_e32 v15, v28, v29
	v_sub_f32_e32 v28, v30, v31
	v_mul_f32_e32 v29, 0xbf29c268, v28
	v_mov_b32_e32 v30, v29
	v_fma_f32 v29, v15, s16, -v29
	v_mul_f32_e32 v31, 0x3f7e222b, v28
	v_fmac_f32_e32 v30, 0xbf3f9e67, v15
	v_add_f32_e32 v29, v29, v33
	v_mov_b32_e32 v32, v31
	v_fma_f32 v31, v15, s10, -v31
	v_mul_f32_e32 v33, 0xbf52af12, v28
	v_add_f32_e32 v30, v30, v34
	v_fmac_f32_e32 v32, 0x3df6dbef, v15
	v_add_f32_e32 v31, v31, v37
	v_mov_b32_e32 v34, v33
	v_fma_f32 v33, v15, s11, -v33
	v_mul_f32_e32 v37, 0x3e750f2a, v28
	v_add_f32_e32 v32, v32, v38
	v_fmac_f32_e32 v34, 0x3f116cb1, v15
	v_add_f32_e32 v33, v33, v39
	v_mov_b32_e32 v38, v37
	v_fma_f32 v37, v15, s17, -v37
	v_mul_f32_e32 v39, 0x3eedf032, v28
	v_mul_f32_e32 v28, 0xbf6f5d39, v28
	v_add_f32_e32 v34, v34, v40
	v_add_f32_e32 v37, v37, v41
	v_mov_b32_e32 v40, v39
	v_mov_b32_e32 v41, v28
	v_fmac_f32_e32 v38, 0xbf788fa5, v15
	v_fmac_f32_e32 v40, 0x3f62ad3f, v15
	v_fma_f32 v39, v15, s12, -v39
	v_fmac_f32_e32 v41, 0xbeb58ec6, v15
	v_fma_f32 v15, v15, s13, -v28
	v_sub_f32_e32 v26, v26, v27
	v_add_f32_e32 v28, v15, v9
	v_mul_f32_e32 v9, 0xbe750f2a, v26
	v_add_f32_e32 v12, v12, v16
	v_mov_b32_e32 v15, v9
	v_fmac_f32_e32 v15, 0xbf788fa5, v12
	v_add_f32_e32 v27, v15, v30
	v_mul_f32_e32 v15, 0x3eedf032, v26
	v_mov_b32_e32 v16, v15
	v_fma_f32 v9, v12, s17, -v9
	v_fmac_f32_e32 v16, 0x3f62ad3f, v12
	v_fma_f32 v15, v12, s12, -v15
	v_add_f32_e32 v9, v9, v29
	v_add_f32_e32 v29, v16, v32
	;; [unrolled: 1-line block ×3, first 2 shown]
	v_mul_f32_e32 v15, 0xbf29c268, v26
	v_mov_b32_e32 v30, v15
	v_fma_f32 v15, v12, s16, -v15
	v_mul_f32_e32 v31, 0x3f52af12, v26
	v_add_f32_e32 v52, v52, v57
	v_add_f32_e32 v54, v54, v59
	;; [unrolled: 1-line block ×4, first 2 shown]
	v_fmac_f32_e32 v30, 0xbf3f9e67, v12
	v_add_f32_e32 v15, v15, v33
	v_mov_b32_e32 v32, v31
	v_fma_f32 v31, v12, s11, -v31
	v_mul_f32_e32 v33, 0xbf6f5d39, v26
	v_mul_f32_e32 v26, 0x3f7e222b, v26
	v_add_f32_e32 v48, v48, v52
	v_add_f32_e32 v50, v50, v54
	v_add_f32_e32 v49, v49, v53
	v_add_f32_e32 v51, v51, v56
	v_add_f32_e32 v30, v30, v34
	v_add_f32_e32 v31, v31, v37
	v_mov_b32_e32 v34, v33
	v_mov_b32_e32 v37, v26
	v_add_f32_e32 v42, v42, v48
	v_add_f32_e32 v44, v44, v50
	;; [unrolled: 1-line block ×4, first 2 shown]
	v_fmac_f32_e32 v32, 0x3f116cb1, v12
	v_fmac_f32_e32 v34, 0xbeb58ec6, v12
	v_fma_f32 v33, v12, s13, -v33
	v_fmac_f32_e32 v37, 0x3df6dbef, v12
	v_fma_f32 v12, v12, s10, -v26
	v_add_f32_e32 v38, v38, v42
	v_add_f32_e32 v40, v40, v44
	;; [unrolled: 1-line block ×9, first 2 shown]
	s_waitcnt lgkmcnt(0)
	s_barrier
	ds_write2_b32 v46, v47, v27 offset1:17
	ds_write2_b32 v46, v29, v30 offset0:34 offset1:51
	ds_write2_b32 v46, v32, v34 offset0:68 offset1:85
	;; [unrolled: 1-line block ×5, first 2 shown]
	ds_write_b32 v46, v9 offset:816
	v_add_u32_e32 v12, 0x400, v4
	s_waitcnt lgkmcnt(0)
	s_barrier
	ds_read2_b32 v[31:32], v12 offset0:50 offset1:186
	v_add_u32_e32 v12, 0x800, v4
	ds_read2_b32 v[33:34], v12 offset0:15 offset1:151
	v_add_u32_e32 v12, 0xa00, v4
	ds_read2_b32 v[27:28], v4 offset0:85 offset1:221
	ds_read2_b32 v[29:30], v12 offset0:108 offset1:244
	ds_read_b32 v37, v25
	ds_read_b32 v38, v4 offset:3876
	s_and_saveexec_b64 s[6:7], s[2:3]
	s_cbranch_execz .LBB0_18
; %bb.17:
	v_add_u32_e32 v9, 0x280, v4
	ds_read2_b32 v[15:16], v9 offset0:10 offset1:231
	v_add_u32_e32 v9, 0x980, v4
	ds_read2_b32 v[9:10], v9 offset0:4 offset1:225
	ds_read_b32 v35, v4 offset:4216
.LBB0_18:
	s_or_b64 exec, exec, s[6:7]
	s_and_saveexec_b64 s[6:7], s[0:1]
	s_cbranch_execz .LBB0_21
; %bb.19:
	v_add_u32_e32 v56, 0x55, v3
	v_lshlrev_b32_e32 v25, 2, v56
	v_mov_b32_e32 v26, 0
	v_lshlrev_b64 v[39:40], 3, v[25:26]
	v_mov_b32_e32 v4, s9
	v_add_co_u32_e32 v47, vcc, s8, v39
	v_addc_co_u32_e32 v48, vcc, v4, v40, vcc
	global_load_dwordx4 v[39:42], v[47:48], off offset:1632
	global_load_dwordx4 v[43:46], v[47:48], off offset:1648
	v_mov_b32_e32 v12, v26
	v_lshlrev_b64 v[11:12], 3, v[11:12]
	v_mul_lo_u32 v25, s5, v7
	v_add_co_u32_e32 v11, vcc, s8, v11
	v_addc_co_u32_e32 v12, vcc, v4, v12, vcc
	global_load_dwordx4 v[47:50], v[11:12], off offset:1632
	global_load_dwordx4 v[51:54], v[11:12], off offset:1648
	v_mul_lo_u32 v57, s4, v8
	v_mad_u64_u32 v[7:8], s[0:1], s4, v7, 0
	s_mov_b32 s1, 0x288b0129
	s_movk_i32 s0, 0x1000
	v_add3_u32 v8, v8, v57, v25
	v_lshlrev_b64 v[7:8], 3, v[7:8]
	v_add_co_u32_e32 v7, vcc, s14, v7
	s_waitcnt vmcnt(3)
	v_mul_f32_e32 v4, v21, v42
	v_mul_f32_e32 v11, v23, v40
	s_waitcnt vmcnt(2)
	v_mul_f32_e32 v25, v19, v44
	v_mul_f32_e32 v57, v36, v46
	s_waitcnt lgkmcnt(5)
	v_mul_f32_e32 v12, v31, v40
	s_waitcnt lgkmcnt(0)
	v_mul_f32_e32 v40, v38, v46
	v_mul_f32_e32 v42, v33, v42
	v_mul_f32_e32 v44, v29, v44
	v_fmac_f32_e32 v4, v33, v41
	v_fmac_f32_e32 v11, v31, v39
	;; [unrolled: 1-line block ×4, first 2 shown]
	v_fma_f32 v12, v23, v39, -v12
	v_fma_f32 v23, v36, v45, -v40
	;; [unrolled: 1-line block ×4, first 2 shown]
	v_sub_f32_e32 v29, v4, v11
	v_sub_f32_e32 v31, v25, v57
	v_add_f32_e32 v36, v11, v57
	v_sub_f32_e32 v38, v21, v12
	v_sub_f32_e32 v39, v19, v23
	v_add_f32_e32 v60, v21, v19
	v_sub_f32_e32 v33, v12, v23
	v_add_f32_e32 v40, v12, v23
	v_sub_f32_e32 v41, v11, v4
	v_sub_f32_e32 v42, v57, v25
	;; [unrolled: 1-line block ×3, first 2 shown]
	v_add_f32_e32 v62, v17, v12
	v_add_f32_e32 v29, v29, v31
	v_fma_f32 v12, -0.5, v36, v27
	v_add_f32_e32 v31, v38, v39
	v_fma_f32 v38, -0.5, v60, v17
	v_sub_f32_e32 v46, v21, v19
	v_sub_f32_e32 v59, v11, v57
	v_add_f32_e32 v61, v27, v11
	v_add_f32_e32 v36, v41, v42
	v_mov_b32_e32 v41, v12
	v_mov_b32_e32 v42, v38
	v_sub_f32_e32 v58, v4, v25
	v_add_f32_e32 v43, v4, v25
	v_sub_f32_e32 v45, v23, v19
	v_add_f32_e32 v4, v4, v61
	v_fmac_f32_e32 v12, 0x3f737871, v46
	v_fmac_f32_e32 v41, 0xbf737871, v46
	v_fmac_f32_e32 v42, 0x3f737871, v59
	v_fmac_f32_e32 v38, 0xbf737871, v59
	v_fma_f32 v11, -0.5, v40, v17
	v_fma_f32 v39, -0.5, v43, v27
	v_add_f32_e32 v27, v44, v45
	v_add_f32_e32 v4, v25, v4
	v_fmac_f32_e32 v12, 0xbf167918, v33
	v_fmac_f32_e32 v41, 0x3f167918, v33
	;; [unrolled: 1-line block ×4, first 2 shown]
	v_add_f32_e32 v17, v21, v62
	v_mov_b32_e32 v40, v11
	v_add_f32_e32 v45, v4, v57
	v_fmac_f32_e32 v12, 0x3e9e377a, v29
	v_fmac_f32_e32 v41, 0x3e9e377a, v29
	v_fmac_f32_e32 v42, 0x3e9e377a, v27
	v_fmac_f32_e32 v38, 0x3e9e377a, v27
	s_waitcnt vmcnt(1)
	v_mul_f32_e32 v4, v18, v48
	v_mul_f32_e32 v25, v24, v50
	s_waitcnt vmcnt(0)
	v_mul_f32_e32 v27, v20, v54
	v_mul_f32_e32 v29, v22, v52
	v_fmac_f32_e32 v11, 0xbf737871, v58
	v_add_f32_e32 v17, v17, v19
	v_fmac_f32_e32 v40, 0x3f737871, v58
	v_fmac_f32_e32 v4, v28, v47
	;; [unrolled: 1-line block ×7, first 2 shown]
	v_add_f32_e32 v44, v17, v23
	v_sub_f32_e32 v17, v4, v25
	v_sub_f32_e32 v19, v27, v29
	v_mov_b32_e32 v43, v39
	v_fmac_f32_e32 v11, 0x3e9e377a, v31
	v_fmac_f32_e32 v40, 0x3e9e377a, v31
	v_add_f32_e32 v31, v17, v19
	v_mul_f32_e32 v17, v32, v50
	v_fmac_f32_e32 v43, 0xbf737871, v33
	v_fmac_f32_e32 v39, 0x3f737871, v33
	v_fma_f32 v32, v24, v49, -v17
	v_mul_f32_e32 v17, v34, v52
	v_fmac_f32_e32 v43, 0xbf167918, v46
	v_fmac_f32_e32 v39, 0x3f167918, v46
	v_fma_f32 v33, v22, v51, -v17
	;; [unrolled: 4-line block ×3, first 2 shown]
	v_mul_f32_e32 v17, v30, v54
	v_sub_f32_e32 v21, v25, v4
	v_sub_f32_e32 v22, v29, v27
	v_fma_f32 v30, v20, v53, -v17
	v_add_f32_e32 v17, v25, v29
	v_add_f32_e32 v49, v21, v22
	;; [unrolled: 1-line block ×3, first 2 shown]
	v_fma_f32 v18, -0.5, v17, v37
	v_sub_f32_e32 v17, v36, v32
	v_sub_f32_e32 v19, v30, v33
	v_fma_f32 v22, -0.5, v21, v37
	v_sub_f32_e32 v21, v32, v36
	v_sub_f32_e32 v23, v33, v30
	v_add_f32_e32 v46, v17, v19
	v_add_f32_e32 v17, v32, v33
	;; [unrolled: 1-line block ×4, first 2 shown]
	v_fma_f32 v17, -0.5, v17, v0
	v_sub_f32_e32 v47, v4, v27
	v_fma_f32 v21, -0.5, v21, v0
	v_add_f32_e32 v4, v37, v4
	v_add_f32_e32 v0, v0, v36
	v_sub_f32_e32 v34, v32, v33
	v_mov_b32_e32 v24, v22
	v_add_f32_e32 v4, v4, v25
	v_add_f32_e32 v0, v0, v32
	v_sub_f32_e32 v28, v36, v30
	v_mov_b32_e32 v20, v18
	v_fmac_f32_e32 v24, 0xbf737871, v34
	v_fmac_f32_e32 v22, 0x3f737871, v34
	v_add_f32_e32 v4, v4, v29
	v_add_f32_e32 v0, v0, v33
	v_fmac_f32_e32 v20, 0x3f737871, v28
	v_fmac_f32_e32 v24, 0x3f167918, v28
	;; [unrolled: 1-line block ×4, first 2 shown]
	v_add_f32_e32 v28, v27, v4
	v_add_f32_e32 v27, v30, v0
	v_mov_b32_e32 v0, s15
	v_addc_co_u32_e32 v8, vcc, v0, v8, vcc
	v_lshlrev_b64 v[0:1], 3, v[1:2]
	v_mov_b32_e32 v4, v26
	v_add_co_u32_e32 v2, vcc, v7, v0
	v_addc_co_u32_e32 v7, vcc, v8, v1, vcc
	v_lshlrev_b64 v[0:1], 3, v[3:4]
	v_mov_b32_e32 v19, v17
	v_add_co_u32_e32 v0, vcc, v2, v0
	v_mul_hi_u32 v2, v56, s1
	v_sub_f32_e32 v48, v25, v29
	v_fmac_f32_e32 v17, 0x3f737871, v47
	v_mov_b32_e32 v23, v21
	v_sub_u32_e32 v4, v56, v2
	v_lshrrev_b32_e32 v4, 1, v4
	v_add_u32_e32 v2, v4, v2
	v_fmac_f32_e32 v21, 0xbf737871, v48
	v_fmac_f32_e32 v18, 0xbf167918, v34
	;; [unrolled: 1-line block ×3, first 2 shown]
	v_lshrrev_b32_e32 v2, 7, v2
	v_fmac_f32_e32 v21, 0x3f167918, v47
	v_fmac_f32_e32 v18, 0x3e9e377a, v31
	;; [unrolled: 1-line block ×3, first 2 shown]
	v_addc_co_u32_e32 v1, vcc, v7, v1, vcc
	v_mul_u32_u24_e32 v25, 0x374, v2
	v_fmac_f32_e32 v22, 0x3e9e377a, v49
	v_fmac_f32_e32 v21, 0x3e9e377a, v50
	global_store_dwordx2 v[0:1], v[27:28], off
	global_store_dwordx2 v[0:1], v[17:18], off offset:1768
	global_store_dwordx2 v[0:1], v[21:22], off offset:3536
	v_add_co_u32_e32 v7, vcc, s0, v0
	v_lshlrev_b64 v[17:18], 3, v[25:26]
	v_fmac_f32_e32 v19, 0xbf737871, v47
	v_fmac_f32_e32 v23, 0x3f737871, v48
	v_addc_co_u32_e32 v8, vcc, 0, v1, vcc
	v_fmac_f32_e32 v19, 0xbf167918, v48
	v_fmac_f32_e32 v23, 0xbf167918, v47
	v_add_co_u32_e32 v17, vcc, v0, v17
	v_fmac_f32_e32 v20, 0x3f167918, v34
	v_fmac_f32_e32 v19, 0x3e9e377a, v46
	;; [unrolled: 1-line block ×4, first 2 shown]
	v_addc_co_u32_e32 v18, vcc, v1, v18, vcc
	v_fmac_f32_e32 v20, 0x3e9e377a, v31
	global_store_dwordx2 v[7:8], v[23:24], off offset:1208
	global_store_dwordx2 v[7:8], v[19:20], off offset:2976
	v_add_co_u32_e32 v19, vcc, 0x2a8, v17
	v_addc_co_u32_e32 v20, vcc, 0, v18, vcc
	global_store_dwordx2 v[17:18], v[44:45], off offset:680
	global_store_dwordx2 v[17:18], v[42:43], off offset:2448
	;; [unrolled: 1-line block ×3, first 2 shown]
	v_add_co_u32_e32 v11, vcc, 0x1000, v17
	v_addc_co_u32_e32 v12, vcc, 0, v18, vcc
	global_store_dwordx2 v[11:12], v[40:41], off offset:1888
	global_store_dwordx2 v[11:12], v[38:39], off offset:3656
	s_and_b64 exec, exec, s[2:3]
	s_cbranch_execz .LBB0_21
; %bb.20:
	v_not_b32_e32 v2, 50
	v_mov_b32_e32 v4, 0xaa
	v_cndmask_b32_e64 v2, v2, v4, s[2:3]
	v_add_lshl_u32 v25, v3, v2, 2
	v_lshlrev_b64 v[2:3], 3, v[25:26]
	v_mov_b32_e32 v4, s9
	v_add_co_u32_e32 v2, vcc, s8, v2
	v_addc_co_u32_e32 v3, vcc, v4, v3, vcc
	global_load_dwordx4 v[17:20], v[2:3], off offset:1632
	global_load_dwordx4 v[21:24], v[2:3], off offset:1648
	v_add_co_u32_e32 v2, vcc, 0x2000, v0
	s_waitcnt vmcnt(1)
	v_mul_f32_e32 v3, v16, v18
	v_mul_f32_e32 v4, v14, v18
	;; [unrolled: 1-line block ×4, first 2 shown]
	s_waitcnt vmcnt(0)
	v_mul_f32_e32 v18, v10, v22
	v_mul_f32_e32 v20, v6, v22
	;; [unrolled: 1-line block ×4, first 2 shown]
	v_fma_f32 v3, v14, v17, -v3
	v_fmac_f32_e32 v4, v16, v17
	v_fma_f32 v5, v5, v19, -v11
	v_fmac_f32_e32 v12, v9, v19
	;; [unrolled: 2-line block ×4, first 2 shown]
	v_add_f32_e32 v9, v13, v3
	v_add_f32_e32 v10, v5, v6
	;; [unrolled: 1-line block ×4, first 2 shown]
	v_sub_f32_e32 v18, v4, v24
	v_sub_f32_e32 v11, v3, v5
	v_add_f32_e32 v17, v3, v14
	v_sub_f32_e32 v21, v5, v3
	v_sub_f32_e32 v26, v5, v6
	;; [unrolled: 1-line block ×3, first 2 shown]
	v_add_f32_e32 v29, v4, v24
	v_sub_f32_e32 v30, v12, v4
	v_add_f32_e32 v9, v9, v5
	v_fma_f32 v4, -0.5, v10, v13
	v_add_f32_e32 v10, v23, v12
	v_fma_f32 v5, -0.5, v25, v15
	v_sub_f32_e32 v16, v14, v6
	v_sub_f32_e32 v22, v6, v14
	;; [unrolled: 1-line block ×3, first 2 shown]
	v_fmac_f32_e32 v13, -0.5, v17
	v_fmac_f32_e32 v15, -0.5, v29
	v_add_f32_e32 v6, v9, v6
	v_mov_b32_e32 v9, v4
	v_add_f32_e32 v17, v10, v20
	v_mov_b32_e32 v10, v5
	v_sub_f32_e32 v19, v12, v20
	v_sub_f32_e32 v28, v24, v20
	;; [unrolled: 1-line block ×3, first 2 shown]
	v_add_f32_e32 v32, v11, v16
	v_fmac_f32_e32 v4, 0xbf737871, v18
	v_mov_b32_e32 v11, v13
	v_fmac_f32_e32 v5, 0x3f737871, v3
	v_mov_b32_e32 v12, v15
	v_fmac_f32_e32 v15, 0xbf737871, v26
	v_fmac_f32_e32 v9, 0x3f737871, v18
	;; [unrolled: 1-line block ×3, first 2 shown]
	v_add_f32_e32 v21, v21, v22
	v_add_f32_e32 v22, v27, v28
	v_add_f32_e32 v23, v30, v31
	v_fmac_f32_e32 v13, 0x3f737871, v19
	v_fmac_f32_e32 v4, 0xbf167918, v19
	;; [unrolled: 1-line block ×8, first 2 shown]
	v_add_f32_e32 v16, v6, v14
	v_fmac_f32_e32 v13, 0xbf167918, v18
	v_add_f32_e32 v17, v17, v24
	v_fmac_f32_e32 v4, 0x3e9e377a, v32
	v_fmac_f32_e32 v11, 0x3f167918, v18
	;; [unrolled: 1-line block ×7, first 2 shown]
	v_addc_co_u32_e32 v3, vcc, 0, v1, vcc
	v_fmac_f32_e32 v13, 0x3e9e377a, v21
	global_store_dwordx2 v[0:1], v[16:17], off offset:1360
	v_fmac_f32_e32 v11, 0x3e9e377a, v21
	v_fmac_f32_e32 v12, 0x3e9e377a, v23
	v_mov_b32_e32 v14, v15
	global_store_dwordx2 v[0:1], v[9:10], off offset:3128
	global_store_dwordx2 v[7:8], v[11:12], off offset:800
	;; [unrolled: 1-line block ×4, first 2 shown]
.LBB0_21:
	s_endpgm
	.section	.rodata,"a",@progbits
	.p2align	6, 0x0
	.amdhsa_kernel fft_rtc_fwd_len1105_factors_17_13_5_wgs_255_tpt_85_halfLds_sp_op_CI_CI_unitstride_sbrr_dirReg
		.amdhsa_group_segment_fixed_size 0
		.amdhsa_private_segment_fixed_size 0
		.amdhsa_kernarg_size 104
		.amdhsa_user_sgpr_count 6
		.amdhsa_user_sgpr_private_segment_buffer 1
		.amdhsa_user_sgpr_dispatch_ptr 0
		.amdhsa_user_sgpr_queue_ptr 0
		.amdhsa_user_sgpr_kernarg_segment_ptr 1
		.amdhsa_user_sgpr_dispatch_id 0
		.amdhsa_user_sgpr_flat_scratch_init 0
		.amdhsa_user_sgpr_private_segment_size 0
		.amdhsa_uses_dynamic_stack 0
		.amdhsa_system_sgpr_private_segment_wavefront_offset 0
		.amdhsa_system_sgpr_workgroup_id_x 1
		.amdhsa_system_sgpr_workgroup_id_y 0
		.amdhsa_system_sgpr_workgroup_id_z 0
		.amdhsa_system_sgpr_workgroup_info 0
		.amdhsa_system_vgpr_workitem_id 0
		.amdhsa_next_free_vgpr 97
		.amdhsa_next_free_sgpr 28
		.amdhsa_reserve_vcc 1
		.amdhsa_reserve_flat_scratch 0
		.amdhsa_float_round_mode_32 0
		.amdhsa_float_round_mode_16_64 0
		.amdhsa_float_denorm_mode_32 3
		.amdhsa_float_denorm_mode_16_64 3
		.amdhsa_dx10_clamp 1
		.amdhsa_ieee_mode 1
		.amdhsa_fp16_overflow 0
		.amdhsa_exception_fp_ieee_invalid_op 0
		.amdhsa_exception_fp_denorm_src 0
		.amdhsa_exception_fp_ieee_div_zero 0
		.amdhsa_exception_fp_ieee_overflow 0
		.amdhsa_exception_fp_ieee_underflow 0
		.amdhsa_exception_fp_ieee_inexact 0
		.amdhsa_exception_int_div_zero 0
	.end_amdhsa_kernel
	.text
.Lfunc_end0:
	.size	fft_rtc_fwd_len1105_factors_17_13_5_wgs_255_tpt_85_halfLds_sp_op_CI_CI_unitstride_sbrr_dirReg, .Lfunc_end0-fft_rtc_fwd_len1105_factors_17_13_5_wgs_255_tpt_85_halfLds_sp_op_CI_CI_unitstride_sbrr_dirReg
                                        ; -- End function
	.section	.AMDGPU.csdata,"",@progbits
; Kernel info:
; codeLenInByte = 12028
; NumSgprs: 32
; NumVgprs: 97
; ScratchSize: 0
; MemoryBound: 0
; FloatMode: 240
; IeeeMode: 1
; LDSByteSize: 0 bytes/workgroup (compile time only)
; SGPRBlocks: 3
; VGPRBlocks: 24
; NumSGPRsForWavesPerEU: 32
; NumVGPRsForWavesPerEU: 97
; Occupancy: 2
; WaveLimiterHint : 1
; COMPUTE_PGM_RSRC2:SCRATCH_EN: 0
; COMPUTE_PGM_RSRC2:USER_SGPR: 6
; COMPUTE_PGM_RSRC2:TRAP_HANDLER: 0
; COMPUTE_PGM_RSRC2:TGID_X_EN: 1
; COMPUTE_PGM_RSRC2:TGID_Y_EN: 0
; COMPUTE_PGM_RSRC2:TGID_Z_EN: 0
; COMPUTE_PGM_RSRC2:TIDIG_COMP_CNT: 0
	.type	__hip_cuid_7a78714b34581404,@object ; @__hip_cuid_7a78714b34581404
	.section	.bss,"aw",@nobits
	.globl	__hip_cuid_7a78714b34581404
__hip_cuid_7a78714b34581404:
	.byte	0                               ; 0x0
	.size	__hip_cuid_7a78714b34581404, 1

	.ident	"AMD clang version 19.0.0git (https://github.com/RadeonOpenCompute/llvm-project roc-6.4.0 25133 c7fe45cf4b819c5991fe208aaa96edf142730f1d)"
	.section	".note.GNU-stack","",@progbits
	.addrsig
	.addrsig_sym __hip_cuid_7a78714b34581404
	.amdgpu_metadata
---
amdhsa.kernels:
  - .args:
      - .actual_access:  read_only
        .address_space:  global
        .offset:         0
        .size:           8
        .value_kind:     global_buffer
      - .offset:         8
        .size:           8
        .value_kind:     by_value
      - .actual_access:  read_only
        .address_space:  global
        .offset:         16
        .size:           8
        .value_kind:     global_buffer
      - .actual_access:  read_only
        .address_space:  global
        .offset:         24
        .size:           8
        .value_kind:     global_buffer
      - .actual_access:  read_only
        .address_space:  global
        .offset:         32
        .size:           8
        .value_kind:     global_buffer
      - .offset:         40
        .size:           8
        .value_kind:     by_value
      - .actual_access:  read_only
        .address_space:  global
        .offset:         48
        .size:           8
        .value_kind:     global_buffer
      - .actual_access:  read_only
        .address_space:  global
        .offset:         56
        .size:           8
        .value_kind:     global_buffer
      - .offset:         64
        .size:           4
        .value_kind:     by_value
      - .actual_access:  read_only
        .address_space:  global
        .offset:         72
        .size:           8
        .value_kind:     global_buffer
      - .actual_access:  read_only
        .address_space:  global
        .offset:         80
        .size:           8
        .value_kind:     global_buffer
      - .actual_access:  read_only
        .address_space:  global
        .offset:         88
        .size:           8
        .value_kind:     global_buffer
      - .actual_access:  write_only
        .address_space:  global
        .offset:         96
        .size:           8
        .value_kind:     global_buffer
    .group_segment_fixed_size: 0
    .kernarg_segment_align: 8
    .kernarg_segment_size: 104
    .language:       OpenCL C
    .language_version:
      - 2
      - 0
    .max_flat_workgroup_size: 255
    .name:           fft_rtc_fwd_len1105_factors_17_13_5_wgs_255_tpt_85_halfLds_sp_op_CI_CI_unitstride_sbrr_dirReg
    .private_segment_fixed_size: 0
    .sgpr_count:     32
    .sgpr_spill_count: 0
    .symbol:         fft_rtc_fwd_len1105_factors_17_13_5_wgs_255_tpt_85_halfLds_sp_op_CI_CI_unitstride_sbrr_dirReg.kd
    .uniform_work_group_size: 1
    .uses_dynamic_stack: false
    .vgpr_count:     97
    .vgpr_spill_count: 0
    .wavefront_size: 64
amdhsa.target:   amdgcn-amd-amdhsa--gfx906
amdhsa.version:
  - 1
  - 2
...

	.end_amdgpu_metadata
